;; amdgpu-corpus repo=ROCm/rocFFT kind=compiled arch=gfx1030 opt=O3
	.text
	.amdgcn_target "amdgcn-amd-amdhsa--gfx1030"
	.amdhsa_code_object_version 6
	.protected	fft_rtc_fwd_len858_factors_13_11_6_wgs_234_tpt_78_halfLds_sp_ip_CI_sbrr_dirReg ; -- Begin function fft_rtc_fwd_len858_factors_13_11_6_wgs_234_tpt_78_halfLds_sp_ip_CI_sbrr_dirReg
	.globl	fft_rtc_fwd_len858_factors_13_11_6_wgs_234_tpt_78_halfLds_sp_ip_CI_sbrr_dirReg
	.p2align	8
	.type	fft_rtc_fwd_len858_factors_13_11_6_wgs_234_tpt_78_halfLds_sp_ip_CI_sbrr_dirReg,@function
fft_rtc_fwd_len858_factors_13_11_6_wgs_234_tpt_78_halfLds_sp_ip_CI_sbrr_dirReg: ; @fft_rtc_fwd_len858_factors_13_11_6_wgs_234_tpt_78_halfLds_sp_ip_CI_sbrr_dirReg
; %bb.0:
	s_clause 0x1
	s_load_dwordx2 s[14:15], s[4:5], 0x18
	s_load_dwordx4 s[8:11], s[4:5], 0x0
	v_mul_u32_u24_e32 v1, 0x349, v0
	v_mov_b32_e32 v6, 0
	v_mov_b32_e32 v4, 0
	v_mov_b32_e32 v5, 0
	s_load_dwordx2 s[12:13], s[4:5], 0x50
	s_waitcnt lgkmcnt(0)
	s_load_dwordx2 s[2:3], s[14:15], 0x0
	v_lshrrev_b32_e32 v1, 16, v1
	v_cmp_lt_u64_e64 s0, s[10:11], 2
	v_mad_u64_u32 v[2:3], null, s6, 3, v[1:2]
	v_mov_b32_e32 v3, v6
	s_and_b32 vcc_lo, exec_lo, s0
	v_mov_b32_e32 v11, v3
	v_mov_b32_e32 v10, v2
	s_cbranch_vccnz .LBB0_8
; %bb.1:
	s_load_dwordx2 s[0:1], s[4:5], 0x10
	v_mov_b32_e32 v4, 0
	v_mov_b32_e32 v9, v3
	s_add_u32 s6, s14, 8
	v_mov_b32_e32 v5, 0
	v_mov_b32_e32 v8, v2
	s_addc_u32 s7, s15, 0
	s_mov_b64 s[18:19], 1
	s_waitcnt lgkmcnt(0)
	s_add_u32 s16, s0, 8
	s_addc_u32 s17, s1, 0
.LBB0_2:                                ; =>This Inner Loop Header: Depth=1
	s_load_dwordx2 s[20:21], s[16:17], 0x0
                                        ; implicit-def: $vgpr10_vgpr11
	s_mov_b32 s0, exec_lo
	s_waitcnt lgkmcnt(0)
	v_or_b32_e32 v7, s21, v9
	v_cmpx_ne_u64_e32 0, v[6:7]
	s_xor_b32 s1, exec_lo, s0
	s_cbranch_execz .LBB0_4
; %bb.3:                                ;   in Loop: Header=BB0_2 Depth=1
	v_cvt_f32_u32_e32 v1, s20
	v_cvt_f32_u32_e32 v3, s21
	s_sub_u32 s0, 0, s20
	s_subb_u32 s22, 0, s21
	v_fmac_f32_e32 v1, 0x4f800000, v3
	v_rcp_f32_e32 v1, v1
	v_mul_f32_e32 v1, 0x5f7ffffc, v1
	v_mul_f32_e32 v3, 0x2f800000, v1
	v_trunc_f32_e32 v3, v3
	v_fmac_f32_e32 v1, 0xcf800000, v3
	v_cvt_u32_f32_e32 v3, v3
	v_cvt_u32_f32_e32 v1, v1
	v_mul_lo_u32 v7, s0, v3
	v_mul_hi_u32 v10, s0, v1
	v_mul_lo_u32 v11, s22, v1
	v_add_nc_u32_e32 v7, v10, v7
	v_mul_lo_u32 v10, s0, v1
	v_add_nc_u32_e32 v7, v7, v11
	v_mul_hi_u32 v11, v1, v10
	v_mul_lo_u32 v12, v1, v7
	v_mul_hi_u32 v13, v1, v7
	v_mul_hi_u32 v14, v3, v10
	v_mul_lo_u32 v10, v3, v10
	v_mul_hi_u32 v15, v3, v7
	v_mul_lo_u32 v7, v3, v7
	v_add_co_u32 v11, vcc_lo, v11, v12
	v_add_co_ci_u32_e32 v12, vcc_lo, 0, v13, vcc_lo
	v_add_co_u32 v10, vcc_lo, v11, v10
	v_add_co_ci_u32_e32 v10, vcc_lo, v12, v14, vcc_lo
	v_add_co_ci_u32_e32 v11, vcc_lo, 0, v15, vcc_lo
	v_add_co_u32 v7, vcc_lo, v10, v7
	v_add_co_ci_u32_e32 v10, vcc_lo, 0, v11, vcc_lo
	v_add_co_u32 v1, vcc_lo, v1, v7
	v_add_co_ci_u32_e32 v3, vcc_lo, v3, v10, vcc_lo
	v_mul_hi_u32 v7, s0, v1
	v_mul_lo_u32 v11, s22, v1
	v_mul_lo_u32 v10, s0, v3
	v_add_nc_u32_e32 v7, v7, v10
	v_mul_lo_u32 v10, s0, v1
	v_add_nc_u32_e32 v7, v7, v11
	v_mul_hi_u32 v11, v1, v10
	v_mul_lo_u32 v12, v1, v7
	v_mul_hi_u32 v13, v1, v7
	v_mul_hi_u32 v14, v3, v10
	v_mul_lo_u32 v10, v3, v10
	v_mul_hi_u32 v15, v3, v7
	v_mul_lo_u32 v7, v3, v7
	v_add_co_u32 v11, vcc_lo, v11, v12
	v_add_co_ci_u32_e32 v12, vcc_lo, 0, v13, vcc_lo
	v_add_co_u32 v10, vcc_lo, v11, v10
	v_add_co_ci_u32_e32 v10, vcc_lo, v12, v14, vcc_lo
	v_add_co_ci_u32_e32 v11, vcc_lo, 0, v15, vcc_lo
	v_add_co_u32 v7, vcc_lo, v10, v7
	v_add_co_ci_u32_e32 v10, vcc_lo, 0, v11, vcc_lo
	v_add_co_u32 v1, vcc_lo, v1, v7
	v_add_co_ci_u32_e32 v3, vcc_lo, v3, v10, vcc_lo
	v_mul_hi_u32 v7, v8, v1
	v_mad_u64_u32 v[12:13], null, v9, v1, 0
	v_mad_u64_u32 v[10:11], null, v8, v3, 0
	v_mad_u64_u32 v[14:15], null, v9, v3, 0
	v_add_co_u32 v1, vcc_lo, v7, v10
	v_add_co_ci_u32_e32 v3, vcc_lo, 0, v11, vcc_lo
	v_add_co_u32 v1, vcc_lo, v1, v12
	v_add_co_ci_u32_e32 v1, vcc_lo, v3, v13, vcc_lo
	v_add_co_ci_u32_e32 v3, vcc_lo, 0, v15, vcc_lo
	v_add_co_u32 v1, vcc_lo, v1, v14
	v_add_co_ci_u32_e32 v3, vcc_lo, 0, v3, vcc_lo
	v_mul_lo_u32 v7, s21, v1
	v_mad_u64_u32 v[10:11], null, s20, v1, 0
	v_mul_lo_u32 v12, s20, v3
	v_sub_co_u32 v10, vcc_lo, v8, v10
	v_add3_u32 v7, v11, v12, v7
	v_sub_nc_u32_e32 v11, v9, v7
	v_subrev_co_ci_u32_e64 v11, s0, s21, v11, vcc_lo
	v_add_co_u32 v12, s0, v1, 2
	v_add_co_ci_u32_e64 v13, s0, 0, v3, s0
	v_sub_co_u32 v14, s0, v10, s20
	v_sub_co_ci_u32_e32 v7, vcc_lo, v9, v7, vcc_lo
	v_subrev_co_ci_u32_e64 v11, s0, 0, v11, s0
	v_cmp_le_u32_e32 vcc_lo, s20, v14
	v_cmp_eq_u32_e64 s0, s21, v7
	v_cndmask_b32_e64 v14, 0, -1, vcc_lo
	v_cmp_le_u32_e32 vcc_lo, s21, v11
	v_cndmask_b32_e64 v15, 0, -1, vcc_lo
	v_cmp_le_u32_e32 vcc_lo, s20, v10
	;; [unrolled: 2-line block ×3, first 2 shown]
	v_cndmask_b32_e64 v16, 0, -1, vcc_lo
	v_cmp_eq_u32_e32 vcc_lo, s21, v11
	v_cndmask_b32_e64 v7, v16, v10, s0
	v_cndmask_b32_e32 v11, v15, v14, vcc_lo
	v_add_co_u32 v14, vcc_lo, v1, 1
	v_add_co_ci_u32_e32 v15, vcc_lo, 0, v3, vcc_lo
	v_cmp_ne_u32_e32 vcc_lo, 0, v11
	v_cndmask_b32_e32 v10, v15, v13, vcc_lo
	v_cndmask_b32_e32 v12, v14, v12, vcc_lo
	v_cmp_ne_u32_e32 vcc_lo, 0, v7
	v_cndmask_b32_e32 v11, v3, v10, vcc_lo
	v_cndmask_b32_e32 v10, v1, v12, vcc_lo
.LBB0_4:                                ;   in Loop: Header=BB0_2 Depth=1
	s_andn2_saveexec_b32 s0, s1
	s_cbranch_execz .LBB0_6
; %bb.5:                                ;   in Loop: Header=BB0_2 Depth=1
	v_cvt_f32_u32_e32 v1, s20
	s_sub_i32 s1, 0, s20
	v_mov_b32_e32 v11, v6
	v_rcp_iflag_f32_e32 v1, v1
	v_mul_f32_e32 v1, 0x4f7ffffe, v1
	v_cvt_u32_f32_e32 v1, v1
	v_mul_lo_u32 v3, s1, v1
	v_mul_hi_u32 v3, v1, v3
	v_add_nc_u32_e32 v1, v1, v3
	v_mul_hi_u32 v1, v8, v1
	v_mul_lo_u32 v3, v1, s20
	v_add_nc_u32_e32 v7, 1, v1
	v_sub_nc_u32_e32 v3, v8, v3
	v_subrev_nc_u32_e32 v10, s20, v3
	v_cmp_le_u32_e32 vcc_lo, s20, v3
	v_cndmask_b32_e32 v3, v3, v10, vcc_lo
	v_cndmask_b32_e32 v1, v1, v7, vcc_lo
	v_cmp_le_u32_e32 vcc_lo, s20, v3
	v_add_nc_u32_e32 v7, 1, v1
	v_cndmask_b32_e32 v10, v1, v7, vcc_lo
.LBB0_6:                                ;   in Loop: Header=BB0_2 Depth=1
	s_or_b32 exec_lo, exec_lo, s0
	s_load_dwordx2 s[0:1], s[6:7], 0x0
	v_mul_lo_u32 v1, v11, s20
	v_mul_lo_u32 v3, v10, s21
	v_mad_u64_u32 v[12:13], null, v10, s20, 0
	s_add_u32 s18, s18, 1
	s_addc_u32 s19, s19, 0
	s_add_u32 s6, s6, 8
	s_addc_u32 s7, s7, 0
	s_add_u32 s16, s16, 8
	s_addc_u32 s17, s17, 0
	v_add3_u32 v1, v13, v3, v1
	v_sub_co_u32 v3, vcc_lo, v8, v12
	v_sub_co_ci_u32_e32 v1, vcc_lo, v9, v1, vcc_lo
	s_waitcnt lgkmcnt(0)
	v_mul_lo_u32 v7, s1, v3
	v_mul_lo_u32 v1, s0, v1
	v_mad_u64_u32 v[4:5], null, s0, v3, v[4:5]
	v_cmp_ge_u64_e64 s0, s[18:19], s[10:11]
	s_and_b32 vcc_lo, exec_lo, s0
	v_add3_u32 v5, v7, v5, v1
	s_cbranch_vccnz .LBB0_8
; %bb.7:                                ;   in Loop: Header=BB0_2 Depth=1
	v_mov_b32_e32 v8, v10
	v_mov_b32_e32 v9, v11
	s_branch .LBB0_2
.LBB0_8:
	s_lshl_b64 s[0:1], s[10:11], 3
	v_mul_hi_u32 v1, 0x3483484, v0
	s_add_u32 s0, s14, s0
	s_addc_u32 s1, s15, s1
	v_mov_b32_e32 v12, 0
	s_load_dwordx2 s[0:1], s[0:1], 0x0
	s_load_dwordx2 s[4:5], s[4:5], 0x20
                                        ; implicit-def: $vgpr21
                                        ; implicit-def: $vgpr19
                                        ; implicit-def: $vgpr17
                                        ; implicit-def: $vgpr33
                                        ; implicit-def: $vgpr25
                                        ; implicit-def: $vgpr23
                                        ; implicit-def: $vgpr27
                                        ; implicit-def: $vgpr31
                                        ; implicit-def: $vgpr35
                                        ; implicit-def: $vgpr37
                                        ; implicit-def: $vgpr39
                                        ; implicit-def: $vgpr29
	v_mul_u32_u24_e32 v1, 0x4e, v1
	v_sub_nc_u32_e32 v40, v0, v1
	s_waitcnt lgkmcnt(0)
	v_mul_lo_u32 v6, s0, v11
	v_mul_lo_u32 v7, s1, v10
	v_mad_u64_u32 v[3:4], null, s0, v10, v[4:5]
	v_cmp_gt_u64_e32 vcc_lo, s[4:5], v[10:11]
	v_cmp_gt_u32_e64 s0, 0x42, v40
	v_mov_b32_e32 v11, 0
	s_and_b32 s1, vcc_lo, s0
	v_add3_u32 v4, v7, v4, v6
	v_lshlrev_b64 v[0:1], 3, v[3:4]
	s_and_saveexec_b32 s4, s1
	s_cbranch_execz .LBB0_10
; %bb.9:
	v_add_nc_u32_e32 v13, 0x42, v40
	v_add_nc_u32_e32 v14, 0x84, v40
	v_mad_u64_u32 v[3:4], null, s2, v40, 0
	v_add_nc_u32_e32 v15, 0xc6, v40
	v_mad_u64_u32 v[5:6], null, s2, v13, 0
	v_mad_u64_u32 v[7:8], null, s2, v14, 0
	;; [unrolled: 1-line block ×3, first 2 shown]
	v_add_nc_u32_e32 v16, 0x108, v40
	v_add_co_u32 v38, s1, s12, v0
	v_mad_u64_u32 v[11:12], null, s3, v40, v[4:5]
	v_mad_u64_u32 v[12:13], null, s3, v13, v[6:7]
	v_add_co_ci_u32_e64 v39, s1, s13, v1, s1
	v_add_nc_u32_e32 v26, 0x18c, v40
	v_add_nc_u32_e32 v27, 0x1ce, v40
	v_mov_b32_e32 v4, v11
	v_mov_b32_e32 v6, v12
	v_mad_u64_u32 v[11:12], null, s3, v14, v[8:9]
	v_lshlrev_b64 v[3:4], 3, v[3:4]
	v_mad_u64_u32 v[24:25], null, s2, v26, 0
	v_lshlrev_b64 v[5:6], 3, v[5:6]
	v_mad_u64_u32 v[12:13], null, s3, v15, v[10:11]
	v_mad_u64_u32 v[13:14], null, s2, v16, 0
	v_add_nc_u32_e32 v15, 0x14a, v40
	v_mov_b32_e32 v8, v11
	v_add_co_u32 v3, s1, v38, v3
	v_mov_b32_e32 v10, v12
	v_mad_u64_u32 v[22:23], null, s2, v15, 0
	v_mov_b32_e32 v11, v14
	v_lshlrev_b64 v[7:8], 3, v[7:8]
	v_add_co_ci_u32_e64 v4, s1, v39, v4, s1
	v_add_co_u32 v5, s1, v38, v5
	v_lshlrev_b64 v[9:10], 3, v[9:10]
	v_add_co_ci_u32_e64 v6, s1, v39, v6, s1
	v_mad_u64_u32 v[11:12], null, s3, v16, v[11:12]
	v_add_co_u32 v7, s1, v38, v7
	v_mov_b32_e32 v12, v23
	v_add_co_ci_u32_e64 v8, s1, v39, v8, s1
	v_add_co_u32 v9, s1, v38, v9
	v_add_co_ci_u32_e64 v10, s1, v39, v10, s1
	v_mad_u64_u32 v[15:16], null, s3, v15, v[12:13]
	v_mov_b32_e32 v14, v11
	s_clause 0x3
	global_load_dwordx2 v[11:12], v[3:4], off
	global_load_dwordx2 v[20:21], v[5:6], off
	;; [unrolled: 1-line block ×4, first 2 shown]
	v_mad_u64_u32 v[6:7], null, s2, v27, 0
	v_mov_b32_e32 v5, v25
	v_lshlrev_b64 v[3:4], 3, v[13:14]
	v_mov_b32_e32 v23, v15
	v_add_nc_u32_e32 v15, 0x210, v40
	v_mad_u64_u32 v[8:9], null, s3, v26, v[5:6]
	v_mov_b32_e32 v5, v7
	v_lshlrev_b64 v[9:10], 3, v[22:23]
	v_add_co_u32 v3, s1, v38, v3
	v_add_co_ci_u32_e64 v4, s1, v39, v4, s1
	v_mov_b32_e32 v25, v8
	v_mad_u64_u32 v[7:8], null, s3, v27, v[5:6]
	v_add_co_u32 v8, s1, v38, v9
	v_mad_u64_u32 v[13:14], null, s2, v15, 0
	v_add_co_ci_u32_e64 v9, s1, v39, v10, s1
	v_add_nc_u32_e32 v10, 0x252, v40
	v_lshlrev_b64 v[22:23], 3, v[24:25]
	v_lshlrev_b64 v[6:7], 3, v[6:7]
	v_add_nc_u32_e32 v24, 0x294, v40
	v_mov_b32_e32 v5, v14
	v_mad_u64_u32 v[26:27], null, s2, v10, 0
	v_add_co_u32 v22, s1, v38, v22
	v_mad_u64_u32 v[30:31], null, s2, v24, 0
	v_add_co_ci_u32_e64 v23, s1, v39, v23, s1
	v_mad_u64_u32 v[14:15], null, s3, v15, v[5:6]
	v_mov_b32_e32 v5, v27
	v_add_co_u32 v6, s1, v38, v6
	v_add_nc_u32_e32 v15, 0x2d6, v40
	v_add_co_ci_u32_e64 v7, s1, v39, v7, s1
	v_mad_u64_u32 v[27:28], null, s3, v10, v[5:6]
	v_add_nc_u32_e32 v10, 0x318, v40
	v_mad_u64_u32 v[34:35], null, s2, v15, 0
	v_mov_b32_e32 v5, v31
	v_mad_u64_u32 v[36:37], null, s2, v10, 0
	v_mad_u64_u32 v[31:32], null, s3, v24, v[5:6]
	s_clause 0x3
	global_load_dwordx2 v[32:33], v[3:4], off
	global_load_dwordx2 v[24:25], v[8:9], off
	;; [unrolled: 1-line block ×4, first 2 shown]
	v_lshlrev_b64 v[4:5], 3, v[13:14]
	v_mov_b32_e32 v3, v35
	v_lshlrev_b64 v[13:14], 3, v[30:31]
	v_mad_u64_u32 v[6:7], null, s3, v15, v[3:4]
	v_mov_b32_e32 v3, v37
	v_add_co_u32 v4, s1, v38, v4
	v_lshlrev_b64 v[7:8], 3, v[26:27]
	v_add_co_ci_u32_e64 v5, s1, v39, v5, s1
	v_mad_u64_u32 v[9:10], null, s3, v10, v[3:4]
	v_mov_b32_e32 v35, v6
	v_add_co_u32 v6, s1, v38, v7
	v_add_co_ci_u32_e64 v7, s1, v39, v8, s1
	v_lshlrev_b64 v[26:27], 3, v[34:35]
	v_mov_b32_e32 v37, v9
	v_add_co_u32 v8, s1, v38, v13
	v_add_co_ci_u32_e64 v9, s1, v39, v14, s1
	v_lshlrev_b64 v[13:14], 3, v[36:37]
	v_add_co_u32 v26, s1, v38, v26
	v_add_co_ci_u32_e64 v27, s1, v39, v27, s1
	v_add_co_u32 v13, s1, v38, v13
	v_add_co_ci_u32_e64 v14, s1, v39, v14, s1
	s_clause 0x4
	global_load_dwordx2 v[38:39], v[4:5], off
	global_load_dwordx2 v[36:37], v[6:7], off
	;; [unrolled: 1-line block ×5, first 2 shown]
.LBB0_10:
	s_or_b32 exec_lo, exec_lo, s4
	s_waitcnt vmcnt(0)
	v_add_f32_e32 v4, v20, v26
	v_sub_f32_e32 v14, v21, v27
	v_add_f32_e32 v5, v18, v30
	v_sub_f32_e32 v15, v19, v31
	v_add_f32_e32 v6, v16, v34
	v_mul_f32_e32 v48, 0x3f116cb1, v4
	v_mul_hi_u32 v3, 0xaaaaaaab, v2
	v_mul_f32_e32 v47, 0xbeb58ec6, v5
	v_sub_f32_e32 v10, v17, v35
	v_add_f32_e32 v7, v32, v36
	v_fmamk_f32 v8, v14, 0xbf52af12, v48
	v_mul_f32_e32 v46, 0xbf788fa5, v6
	v_fmamk_f32 v9, v15, 0xbf6f5d39, v47
	v_sub_f32_e32 v13, v33, v37
	v_mul_f32_e32 v44, 0xbf3f9e67, v7
	v_add_f32_e32 v42, v11, v8
	v_add_f32_e32 v8, v24, v38
	v_fmamk_f32 v43, v10, 0xbe750f2a, v46
	v_lshrrev_b32_e32 v3, 1, v3
	v_sub_f32_e32 v41, v25, v39
	v_add_f32_e32 v42, v42, v9
	v_add_f32_e32 v9, v22, v28
	v_mul_f32_e32 v45, 0x3df6dbef, v8
	v_fmamk_f32 v49, v13, 0x3f29c268, v44
	v_lshl_add_u32 v3, v3, 1, v3
	v_add_f32_e32 v50, v42, v43
	v_sub_f32_e32 v42, v23, v29
	v_mul_f32_e32 v43, 0x3f62ad3f, v9
	v_fmamk_f32 v51, v41, 0x3f7e222b, v45
	v_sub_nc_u32_e32 v2, v2, v3
	v_add_f32_e32 v49, v50, v49
	v_fmamk_f32 v3, v42, 0x3eedf032, v43
	v_mul_u32_u24_e32 v2, 0x35a, v2
	v_add_f32_e32 v49, v49, v51
	v_lshlrev_b32_e32 v2, 2, v2
	v_add_f32_e32 v3, v49, v3
	s_and_saveexec_b32 s1, s0
	s_cbranch_execz .LBB0_12
; %bb.11:
	v_mul_f32_e32 v49, 0xbe750f2a, v14
	v_mul_f32_e32 v50, 0x3eedf032, v15
	;; [unrolled: 1-line block ×5, first 2 shown]
	v_fmamk_f32 v54, v4, 0xbf788fa5, v49
	v_fmamk_f32 v58, v5, 0x3f62ad3f, v50
	v_fma_f32 v49, 0xbf788fa5, v4, -v49
	v_fmamk_f32 v60, v6, 0xbf3f9e67, v51
	v_fma_f32 v50, 0x3f62ad3f, v5, -v50
	v_add_f32_e32 v54, v11, v54
	v_mul_f32_e32 v56, 0xbf29c268, v14
	v_add_f32_e32 v49, v11, v49
	v_fma_f32 v51, 0xbf3f9e67, v6, -v51
	v_mul_f32_e32 v55, 0x3f7e222b, v42
	v_add_f32_e32 v54, v54, v58
	v_fmamk_f32 v58, v7, 0x3f116cb1, v52
	v_add_f32_e32 v49, v49, v50
	v_mul_f32_e32 v57, 0x3f7e222b, v15
	v_fmamk_f32 v61, v8, 0xbeb58ec6, v53
	v_add_f32_e32 v54, v54, v60
	v_fmamk_f32 v60, v4, 0xbf3f9e67, v56
	v_fma_f32 v52, 0x3f116cb1, v7, -v52
	v_add_f32_e32 v49, v49, v51
	v_mul_f32_e32 v59, 0xbf52af12, v10
	v_add_f32_e32 v54, v54, v58
	v_fmamk_f32 v50, v9, 0x3df6dbef, v55
	v_fma_f32 v51, 0xbeb58ec6, v8, -v53
	v_fmamk_f32 v53, v5, 0x3df6dbef, v57
	v_add_f32_e32 v58, v11, v60
	v_add_f32_e32 v54, v54, v61
	;; [unrolled: 1-line block ×3, first 2 shown]
	v_mul_f32_e32 v52, 0x3e750f2a, v13
	v_fmamk_f32 v60, v6, 0x3f116cb1, v59
	v_add_f32_e32 v53, v58, v53
	v_add_f32_e32 v50, v54, v50
	;; [unrolled: 1-line block ×3, first 2 shown]
	v_fma_f32 v51, 0x3df6dbef, v9, -v55
	v_fma_f32 v54, 0xbf3f9e67, v4, -v56
	v_add_f32_e32 v53, v53, v60
	v_fmamk_f32 v55, v7, 0xbf788fa5, v52
	v_mul_f32_e32 v56, 0x3eedf032, v41
	v_add_f32_e32 v49, v49, v51
	v_add_f32_e32 v51, v11, v54
	v_fma_f32 v54, 0x3df6dbef, v5, -v57
	v_add_f32_e32 v53, v53, v55
	v_fmamk_f32 v55, v8, 0x3f62ad3f, v56
	v_mul_f32_e32 v57, 0xbf6f5d39, v42
	v_mul_f32_e32 v58, 0xbf6f5d39, v14
	v_add_f32_e32 v51, v51, v54
	v_fma_f32 v54, 0x3f116cb1, v6, -v59
	v_add_f32_e32 v53, v53, v55
	v_fmamk_f32 v55, v9, 0xbeb58ec6, v57
	v_fmamk_f32 v59, v4, 0xbeb58ec6, v58
	v_mul_f32_e32 v60, 0x3f29c268, v15
	v_add_f32_e32 v51, v51, v54
	v_fma_f32 v52, 0xbf788fa5, v7, -v52
	v_add_f32_e32 v53, v53, v55
	v_add_f32_e32 v54, v11, v59
	v_fmamk_f32 v55, v5, 0xbf3f9e67, v60
	v_mul_f32_e32 v59, 0x3eedf032, v10
	v_add_f32_e32 v51, v51, v52
	v_fma_f32 v52, 0xbeb58ec6, v4, -v58
	v_fma_f32 v56, 0x3f62ad3f, v8, -v56
	v_add_f32_e32 v54, v54, v55
	v_fmamk_f32 v55, v6, 0x3f62ad3f, v59
	v_mul_f32_e32 v58, 0xbf7e222b, v13
	v_add_f32_e32 v52, v11, v52
	v_fma_f32 v60, 0xbf3f9e67, v5, -v60
	v_add_f32_e32 v51, v51, v56
	v_add_f32_e32 v54, v54, v55
	v_fmamk_f32 v55, v7, 0x3df6dbef, v58
	v_mul_f32_e32 v56, 0x3e750f2a, v41
	v_add_f32_e32 v52, v52, v60
	v_fma_f32 v59, 0x3f62ad3f, v6, -v59
	v_mul_f32_e32 v60, 0x3f52af12, v42
	v_add_f32_e32 v54, v54, v55
	v_fmamk_f32 v55, v8, 0xbf788fa5, v56
	v_fma_f32 v58, 0x3df6dbef, v7, -v58
	v_add_f32_e32 v52, v52, v59
	v_fma_f32 v57, 0xbeb58ec6, v9, -v57
	v_mul_f32_e32 v61, 0xbf7e222b, v14
	v_add_f32_e32 v54, v54, v55
	v_fmamk_f32 v59, v9, 0x3f116cb1, v60
	v_add_f32_e32 v52, v52, v58
	v_fma_f32 v56, 0xbf788fa5, v8, -v56
	v_add_f32_e32 v51, v51, v57
	v_fmamk_f32 v55, v4, 0x3df6dbef, v61
	v_mul_f32_e32 v57, 0xbe750f2a, v15
	v_add_f32_e32 v54, v54, v59
	v_add_f32_e32 v52, v52, v56
	v_fma_f32 v56, 0x3df6dbef, v4, -v61
	v_mul_f32_e32 v59, 0xbf52af12, v14
	v_add_f32_e32 v55, v11, v55
	v_fmamk_f32 v58, v5, 0xbf788fa5, v57
	v_mul_f32_e32 v62, 0x3f6f5d39, v10
	v_add_f32_e32 v56, v11, v56
	v_fma_f32 v57, 0xbf788fa5, v5, -v57
	v_sub_f32_e32 v48, v48, v59
	v_mul_f32_e32 v59, 0xbf6f5d39, v15
	v_add_f32_e32 v55, v55, v58
	v_fmamk_f32 v58, v6, 0xbeb58ec6, v62
	v_mul_f32_e32 v61, 0x3eedf032, v13
	v_add_f32_e32 v56, v56, v57
	v_fma_f32 v57, 0xbeb58ec6, v6, -v62
	v_add_f32_e32 v48, v11, v48
	v_sub_f32_e32 v47, v47, v59
	v_add_f32_e32 v55, v55, v58
	v_fmamk_f32 v58, v7, 0x3f62ad3f, v61
	v_add_f32_e32 v56, v56, v57
	v_mul_f32_e32 v62, 0xbf52af12, v41
	v_add_f32_e32 v47, v48, v47
	v_fma_f32 v48, 0x3f62ad3f, v7, -v61
	v_add_f32_e32 v55, v55, v58
	v_mul_f32_e32 v58, 0xbe750f2a, v10
	v_fmamk_f32 v57, v8, 0x3f116cb1, v62
	v_fma_f32 v59, 0x3f116cb1, v8, -v62
	v_add_f32_e32 v48, v56, v48
	v_add_f32_e32 v56, v11, v20
	v_sub_f32_e32 v46, v46, v58
	v_mul_f32_e32 v58, 0x3f29c268, v13
	v_add_f32_e32 v55, v55, v57
	v_mul_f32_e32 v57, 0x3f7e222b, v41
	v_add_f32_e32 v56, v56, v18
	v_add_f32_e32 v46, v47, v46
	v_mul_f32_e32 v47, 0xbf29c268, v42
	v_sub_f32_e32 v44, v44, v58
	v_add_f32_e32 v48, v48, v59
	v_add_f32_e32 v56, v56, v16
	v_sub_f32_e32 v45, v45, v57
	v_fma_f32 v59, 0xbf3f9e67, v9, -v47
	v_add_f32_e32 v44, v46, v44
	v_mul_f32_e32 v14, 0xbeedf032, v14
	v_fmamk_f32 v46, v9, 0xbf3f9e67, v47
	v_add_f32_e32 v47, v56, v32
	v_mul_f32_e32 v15, 0xbf52af12, v15
	v_add_f32_e32 v44, v44, v45
	v_fma_f32 v45, 0x3f62ad3f, v4, -v14
	v_fmamk_f32 v4, v4, 0x3f62ad3f, v14
	v_add_f32_e32 v47, v47, v24
	v_mul_f32_e32 v10, 0xbf7e222b, v10
	v_mul_f32_e32 v13, 0xbf6f5d39, v13
	v_add_f32_e32 v14, v11, v45
	v_fma_f32 v45, 0x3f116cb1, v5, -v15
	v_add_f32_e32 v47, v47, v22
	v_add_f32_e32 v4, v11, v4
	v_fmamk_f32 v5, v5, 0x3f116cb1, v15
	v_fma_f32 v15, 0x3df6dbef, v6, -v10
	v_add_f32_e32 v11, v14, v45
	v_add_f32_e32 v14, v47, v28
	v_mul_f32_e32 v58, 0x3eedf032, v42
	v_add_f32_e32 v4, v4, v5
	v_fmamk_f32 v5, v6, 0x3df6dbef, v10
	v_add_f32_e32 v10, v11, v15
	v_add_f32_e32 v6, v38, v14
	v_fma_f32 v11, 0xbeb58ec6, v7, -v13
	v_mul_f32_e32 v14, 0xbf29c268, v41
	v_add_f32_e32 v4, v4, v5
	v_sub_f32_e32 v43, v43, v58
	v_add_f32_e32 v5, v36, v6
	v_fmamk_f32 v6, v7, 0xbeb58ec6, v13
	v_add_f32_e32 v7, v10, v11
	v_fma_f32 v10, 0xbf3f9e67, v8, -v14
	v_mul_f32_e32 v11, 0xbe750f2a, v42
	v_add_f32_e32 v5, v34, v5
	v_add_f32_e32 v4, v4, v6
	v_fmamk_f32 v6, v8, 0xbf3f9e67, v14
	v_add_f32_e32 v7, v7, v10
	v_fma_f32 v8, 0xbf788fa5, v9, -v11
	v_add_f32_e32 v5, v30, v5
	v_mul_u32_u24_e32 v10, 52, v40
	v_fma_f32 v60, 0x3f116cb1, v9, -v60
	v_add_f32_e32 v4, v4, v6
	v_fmamk_f32 v6, v9, 0xbf788fa5, v11
	v_add_f32_e32 v7, v7, v8
	v_add_f32_e32 v5, v26, v5
	v_add3_u32 v8, 0, v10, v2
	v_add_f32_e32 v48, v48, v59
	v_add_f32_e32 v9, v44, v43
	;; [unrolled: 1-line block ×5, first 2 shown]
	ds_write2_b32 v8, v5, v7 offset1:1
	ds_write2_b32 v8, v9, v48 offset0:2 offset1:3
	ds_write2_b32 v8, v10, v51 offset0:4 offset1:5
	ds_write2_b32 v8, v49, v50 offset0:6 offset1:7
	ds_write2_b32 v8, v53, v54 offset0:8 offset1:9
	ds_write2_b32 v8, v11, v3 offset0:10 offset1:11
	ds_write_b32 v8, v4 offset:48
.LBB0_12:
	s_or_b32 exec_lo, exec_lo, s1
	v_sub_f32_e32 v54, v20, v26
	v_add_f32_e32 v51, v21, v27
	v_sub_f32_e32 v50, v18, v30
	v_add_f32_e32 v48, v19, v31
	v_sub_f32_e32 v46, v16, v34
	v_mul_f32_e32 v53, 0xbf52af12, v54
	v_lshlrev_b32_e32 v6, 2, v40
	v_mul_f32_e32 v52, 0xbf6f5d39, v50
	v_add_f32_e32 v45, v17, v35
	v_mul_f32_e32 v49, 0xbe750f2a, v46
	v_fma_f32 v4, 0x3f116cb1, v51, -v53
	v_add_nc_u32_e32 v30, 0, v6
	v_fma_f32 v5, 0xbeb58ec6, v48, -v52
	v_sub_f32_e32 v43, v32, v36
	v_sub_f32_e32 v32, v22, v28
	v_add_f32_e32 v4, v12, v4
	v_fma_f32 v7, 0xbf788fa5, v45, -v49
	v_add_nc_u32_e32 v22, v30, v2
	v_sub_f32_e32 v36, v24, v38
	v_add3_u32 v24, 0, v2, v6
	v_add_f32_e32 v4, v4, v5
	v_add_f32_e32 v41, v33, v37
	v_add_nc_u32_e32 v26, 0x400, v22
	v_mul_f32_e32 v47, 0x3f29c268, v43
	v_add_nc_u32_e32 v20, 0x800, v22
	v_add_f32_e32 v55, v4, v7
	v_add_nc_u32_e32 v4, 0x200, v22
	v_add_nc_u32_e32 v28, 0xa00, v22
	s_waitcnt lgkmcnt(0)
	s_barrier
	buffer_gl0_inv
	ds_read_b32 v18, v24
	ds_read2_b32 v[15:16], v22 offset0:78 offset1:156
	ds_read2_b32 v[13:14], v4 offset0:106 offset1:184
	;; [unrolled: 1-line block ×5, first 2 shown]
	v_add_f32_e32 v34, v25, v39
	v_mul_f32_e32 v44, 0x3f7e222b, v36
	v_fma_f32 v5, 0xbf3f9e67, v41, -v47
	v_add_f32_e32 v38, v23, v29
	v_mul_f32_e32 v42, 0x3eedf032, v32
	s_waitcnt lgkmcnt(0)
	v_fma_f32 v56, 0x3df6dbef, v34, -v44
	v_add_f32_e32 v5, v55, v5
	s_barrier
	v_fma_f32 v55, 0x3f62ad3f, v38, -v42
	buffer_gl0_inv
	v_add_f32_e32 v5, v5, v56
	v_add_f32_e32 v5, v5, v55
	s_and_saveexec_b32 s1, s0
	s_cbranch_execz .LBB0_14
; %bb.13:
	v_add_f32_e32 v21, v12, v21
	v_mul_f32_e32 v55, 0x3f116cb1, v51
	v_mul_f32_e32 v60, 0xbeedf032, v54
	;; [unrolled: 1-line block ×4, first 2 shown]
	v_add_f32_e32 v19, v21, v19
	v_mul_f32_e32 v62, 0xbf29c268, v54
	v_mul_f32_e32 v63, 0xbf52af12, v50
	v_fmamk_f32 v65, v51, 0x3f62ad3f, v60
	v_mul_f32_e32 v64, 0x3f29c268, v50
	v_add_f32_e32 v17, v19, v17
	v_mul_f32_e32 v19, 0xbf6f5d39, v54
	v_mul_f32_e32 v54, 0xbe750f2a, v54
	v_fma_f32 v60, 0x3f62ad3f, v51, -v60
	v_add_f32_e32 v52, v56, v52
	v_add_f32_e32 v17, v17, v33
	v_mul_f32_e32 v33, 0xbe750f2a, v50
	v_fmamk_f32 v66, v51, 0xbf788fa5, v54
	v_add_f32_e32 v56, v12, v65
	v_add_f32_e32 v60, v12, v60
	;; [unrolled: 1-line block ×4, first 2 shown]
	v_fmamk_f32 v53, v51, 0x3df6dbef, v61
	v_fma_f32 v55, 0x3df6dbef, v51, -v61
	v_fmamk_f32 v61, v51, 0xbeb58ec6, v19
	v_add_f32_e32 v17, v17, v23
	v_fma_f32 v19, 0xbeb58ec6, v51, -v19
	v_fmamk_f32 v23, v51, 0xbf3f9e67, v62
	v_fma_f32 v62, 0xbf3f9e67, v51, -v62
	v_add_f32_e32 v25, v12, v25
	v_add_f32_e32 v17, v17, v29
	v_fma_f32 v29, 0xbf788fa5, v51, -v54
	v_fmamk_f32 v51, v48, 0x3f116cb1, v63
	v_add_f32_e32 v19, v12, v19
	v_add_f32_e32 v23, v12, v23
	v_add_f32_e32 v17, v39, v17
	v_fmamk_f32 v39, v48, 0xbf788fa5, v33
	v_fma_f32 v33, 0xbf788fa5, v48, -v33
	v_add_f32_e32 v25, v25, v52
	v_fma_f32 v54, 0x3f116cb1, v48, -v63
	v_add_f32_e32 v17, v37, v17
	v_add_f32_e32 v37, v12, v53
	;; [unrolled: 1-line block ×9, first 2 shown]
	v_fma_f32 v51, 0xbf3f9e67, v48, -v64
	v_add_f32_e32 v17, v31, v17
	v_add_f32_e32 v33, v53, v33
	v_mul_f32_e32 v53, 0xbf7e222b, v46
	v_mul_f32_e32 v57, 0xbf788fa5, v45
	v_add_f32_e32 v19, v19, v51
	v_add_f32_e32 v17, v27, v17
	;; [unrolled: 1-line block ×3, first 2 shown]
	v_mul_f32_e32 v39, 0x3f7e222b, v50
	v_mul_f32_e32 v50, 0x3eedf032, v50
	v_fmamk_f32 v37, v48, 0xbf3f9e67, v64
	v_add_f32_e32 v31, v60, v54
	v_add_f32_e32 v49, v57, v49
	v_fmamk_f32 v52, v48, 0x3df6dbef, v39
	v_fma_f32 v39, 0x3df6dbef, v48, -v39
	v_fmamk_f32 v51, v48, 0x3f62ad3f, v50
	v_fma_f32 v48, 0x3f62ad3f, v48, -v50
	v_fmamk_f32 v50, v45, 0x3df6dbef, v53
	v_add_f32_e32 v23, v23, v52
	v_add_f32_e32 v35, v35, v39
	;; [unrolled: 1-line block ×3, first 2 shown]
	v_mul_f32_e32 v51, 0x3f6f5d39, v46
	v_add_f32_e32 v12, v12, v48
	v_fma_f32 v48, 0x3df6dbef, v45, -v53
	v_add_f32_e32 v29, v29, v50
	v_mul_f32_e32 v52, 0x3eedf032, v46
	v_fmamk_f32 v50, v45, 0xbeb58ec6, v51
	v_add_f32_e32 v37, v55, v37
	v_add_f32_e32 v31, v31, v48
	v_fma_f32 v48, 0xbeb58ec6, v45, -v51
	v_fma_f32 v51, 0x3f62ad3f, v45, -v52
	v_add_f32_e32 v27, v27, v50
	v_mul_f32_e32 v50, 0xbf52af12, v46
	v_add_f32_e32 v25, v25, v49
	v_fmamk_f32 v49, v45, 0x3f62ad3f, v52
	v_add_f32_e32 v33, v33, v48
	v_mul_f32_e32 v46, 0xbf29c268, v46
	v_fmamk_f32 v48, v45, 0x3f116cb1, v50
	v_add_f32_e32 v19, v19, v51
	v_mul_f32_e32 v51, 0xbf6f5d39, v43
	v_add_f32_e32 v37, v37, v49
	v_fma_f32 v49, 0x3f116cb1, v45, -v50
	v_fmamk_f32 v50, v45, 0xbf3f9e67, v46
	v_add_f32_e32 v23, v23, v48
	v_fma_f32 v45, 0xbf3f9e67, v45, -v46
	v_fmamk_f32 v46, v41, 0xbeb58ec6, v51
	v_mul_f32_e32 v48, 0x3eedf032, v43
	v_mul_f32_e32 v58, 0xbf3f9e67, v41
	v_add_f32_e32 v35, v35, v49
	v_add_f32_e32 v12, v12, v45
	v_fma_f32 v45, 0xbeb58ec6, v41, -v51
	v_add_f32_e32 v29, v29, v46
	v_fmamk_f32 v46, v41, 0x3f62ad3f, v48
	v_mul_f32_e32 v49, 0xbf7e222b, v43
	v_add_f32_e32 v47, v58, v47
	v_add_f32_e32 v31, v31, v45
	v_fma_f32 v45, 0x3f62ad3f, v41, -v48
	v_add_f32_e32 v27, v27, v46
	v_fmamk_f32 v46, v41, 0x3df6dbef, v49
	v_mul_f32_e32 v48, 0x3e750f2a, v43
	v_add_f32_e32 v25, v25, v47
	v_fma_f32 v47, 0x3df6dbef, v41, -v49
	v_mul_f32_e32 v43, 0x3f52af12, v43
	v_add_f32_e32 v33, v33, v45
	v_add_f32_e32 v37, v37, v46
	v_fmamk_f32 v45, v41, 0xbf788fa5, v48
	v_fma_f32 v46, 0xbf788fa5, v41, -v48
	v_mul_f32_e32 v48, 0xbf29c268, v36
	v_add_f32_e32 v19, v19, v47
	v_fmamk_f32 v47, v41, 0x3f116cb1, v43
	v_fma_f32 v41, 0x3f116cb1, v41, -v43
	v_mul_f32_e32 v21, 0x3df6dbef, v34
	v_fmamk_f32 v43, v34, 0xbf3f9e67, v48
	v_add_f32_e32 v39, v39, v50
	v_add_f32_e32 v23, v23, v45
	;; [unrolled: 1-line block ×3, first 2 shown]
	v_mul_f32_e32 v41, 0xbf52af12, v36
	v_add_f32_e32 v21, v21, v44
	v_add_f32_e32 v29, v29, v43
	v_mul_f32_e32 v43, 0x3e750f2a, v36
	v_add_f32_e32 v39, v39, v47
	v_fmamk_f32 v44, v34, 0x3f116cb1, v41
	v_add_f32_e32 v21, v25, v21
	v_fma_f32 v25, 0x3f116cb1, v34, -v41
	v_fmamk_f32 v41, v34, 0xbf788fa5, v43
	v_fma_f32 v43, 0xbf788fa5, v34, -v43
	v_add_f32_e32 v27, v27, v44
	v_mul_f32_e32 v44, 0x3eedf032, v36
	v_mul_f32_e32 v36, 0xbf6f5d39, v36
	v_fma_f32 v45, 0xbf3f9e67, v34, -v48
	v_add_f32_e32 v19, v19, v43
	v_mul_f32_e32 v43, 0xbe750f2a, v32
	v_add_f32_e32 v25, v33, v25
	v_add_f32_e32 v33, v37, v41
	v_fmamk_f32 v37, v34, 0x3f62ad3f, v44
	v_fma_f32 v41, 0x3f62ad3f, v34, -v44
	v_fmamk_f32 v44, v34, 0xbeb58ec6, v36
	v_fma_f32 v34, 0xbeb58ec6, v34, -v36
	v_mul_f32_e32 v59, 0x3f62ad3f, v38
	v_fmamk_f32 v36, v38, 0xbf788fa5, v43
	v_add_f32_e32 v31, v31, v45
	v_add_f32_e32 v23, v23, v37
	;; [unrolled: 1-line block ×3, first 2 shown]
	v_mul_f32_e32 v39, 0xbf29c268, v32
	v_add_f32_e32 v12, v12, v34
	v_fma_f32 v34, 0xbf788fa5, v38, -v43
	v_add_f32_e32 v29, v29, v36
	v_add_f32_e32 v36, v59, v42
	v_mul_f32_e32 v42, 0x3f52af12, v32
	v_add_f32_e32 v35, v35, v46
	v_add_f32_e32 v31, v31, v34
	v_fma_f32 v34, 0xbf3f9e67, v38, -v39
	v_add_f32_e32 v21, v21, v36
	v_fmamk_f32 v36, v38, 0x3f116cb1, v42
	v_add_f32_e32 v35, v35, v41
	v_fmamk_f32 v41, v38, 0xbf3f9e67, v39
	v_fma_f32 v39, 0x3f116cb1, v38, -v42
	v_add_f32_e32 v25, v25, v34
	v_mul_f32_e32 v34, 0xbf6f5d39, v32
	v_mul_f32_e32 v32, 0x3f7e222b, v32
	v_add_f32_e32 v33, v33, v36
	v_mul_u32_u24_e32 v36, 48, v40
	v_add_f32_e32 v19, v19, v39
	v_fmamk_f32 v39, v38, 0xbeb58ec6, v34
	v_add_f32_e32 v27, v27, v41
	v_fmamk_f32 v41, v38, 0x3df6dbef, v32
	v_fma_f32 v32, 0x3df6dbef, v38, -v32
	v_fma_f32 v34, 0xbeb58ec6, v38, -v34
	v_add3_u32 v30, v30, v36, v2
	v_add_f32_e32 v23, v23, v39
	v_add_f32_e32 v36, v37, v41
	;; [unrolled: 1-line block ×4, first 2 shown]
	ds_write2_b32 v30, v17, v29 offset1:1
	ds_write2_b32 v30, v21, v27 offset0:2 offset1:3
	ds_write2_b32 v30, v33, v23 offset0:4 offset1:5
	;; [unrolled: 1-line block ×5, first 2 shown]
	ds_write_b32 v30, v31 offset:48
.LBB0_14:
	s_or_b32 exec_lo, exec_lo, s1
	v_and_b32_e32 v12, 0xff, v40
	v_mov_b32_e32 v19, 10
	s_waitcnt lgkmcnt(0)
	s_barrier
	buffer_gl0_inv
	v_mul_lo_u16 v12, 0x4f, v12
	v_cmp_gt_u32_e64 s0, 0x41, v40
	v_lshrrev_b16 v12, 10, v12
	v_mul_lo_u16 v17, v12, 13
	v_and_b32_e32 v12, 0xffff, v12
	v_sub_nc_u16 v17, v40, v17
	v_mad_u32_u24 v12, 0x23c, v12, 0
	v_mul_u32_u24_sdwa v19, v17, v19 dst_sel:DWORD dst_unused:UNUSED_PAD src0_sel:BYTE_0 src1_sel:DWORD
	v_lshlrev_b32_e32 v19, 3, v19
	s_clause 0x4
	global_load_dwordx4 v[42:45], v19, s[8:9]
	global_load_dwordx4 v[46:49], v19, s[8:9] offset:16
	global_load_dwordx4 v[50:53], v19, s[8:9] offset:32
	;; [unrolled: 1-line block ×4, first 2 shown]
	ds_read2_b32 v[32:33], v22 offset0:78 offset1:156
	ds_read2_b32 v[62:63], v4 offset0:106 offset1:184
	;; [unrolled: 1-line block ×5, first 2 shown]
	ds_read_b32 v31, v24
	v_mov_b32_e32 v19, 2
	v_add_nc_u32_e32 v20, 0x600, v22
	s_waitcnt vmcnt(0) lgkmcnt(0)
	s_barrier
	buffer_gl0_inv
	v_lshlrev_b32_sdwa v17, v19, v17 dst_sel:DWORD dst_unused:UNUSED_PAD src0_sel:DWORD src1_sel:BYTE_0
	v_add3_u32 v19, v12, v17, v2
	v_mul_f32_e32 v2, v32, v43
	v_mul_f32_e32 v38, v15, v43
	;; [unrolled: 1-line block ×20, first 2 shown]
	v_fma_f32 v41, v15, v42, -v2
	v_fmac_f32_e32 v38, v32, v42
	v_fmac_f32_e32 v36, v33, v44
	;; [unrolled: 1-line block ×10, first 2 shown]
	v_fma_f32 v37, v16, v44, -v17
	v_fma_f32 v32, v13, v46, -v23
	v_fma_f32 v13, v14, v48, -v25
	v_fma_f32 v10, v10, v50, -v28
	v_fma_f32 v11, v11, v52, -v39
	v_fma_f32 v28, v8, v54, -v43
	v_fma_f32 v33, v9, v56, -v45
	v_fma_f32 v42, v7, v60, -v49
	v_fma_f32 v39, v6, v58, -v47
	v_sub_f32_e32 v6, v38, v34
	v_sub_f32_e32 v8, v36, v35
	v_sub_f32_e32 v14, v29, v30
	v_sub_f32_e32 v16, v26, v27
	v_sub_f32_e32 v17, v12, v21
	v_add_f32_e32 v25, v18, v41
	v_add_f32_e32 v2, v41, v42
	;; [unrolled: 1-line block ×6, first 2 shown]
	v_mul_f32_e32 v43, 0xbf0a6770, v6
	v_mul_f32_e32 v44, 0xbf68dda4, v6
	;; [unrolled: 1-line block ×25, first 2 shown]
	v_add_f32_e32 v25, v25, v37
	v_fma_f32 v63, 0x3f575c64, v2, -v43
	v_fmac_f32_e32 v43, 0x3f575c64, v2
	v_fma_f32 v64, 0x3ed4b147, v2, -v44
	v_fmac_f32_e32 v44, 0x3ed4b147, v2
	;; [unrolled: 2-line block ×25, first 2 shown]
	v_add_f32_e32 v23, v25, v32
	v_add_f32_e32 v25, v18, v63
	;; [unrolled: 1-line block ×57, first 2 shown]
	ds_write2_b32 v19, v45, v14 offset0:26 offset1:39
	v_add_f32_e32 v14, v16, v42
	ds_write2_b32 v19, v18, v25 offset0:52 offset1:65
	ds_write2_b32 v19, v6, v7 offset0:78 offset1:91
	;; [unrolled: 1-line block ×3, first 2 shown]
	ds_write_b32 v19, v2 offset:520
	ds_write2_b32 v19, v14, v15 offset1:13
	s_waitcnt lgkmcnt(0)
	s_barrier
	buffer_gl0_inv
	ds_read2_b32 v[14:15], v4 offset0:15 offset1:158
	ds_read2_b32 v[16:17], v20 offset0:45 offset1:188
	ds_read_b32 v23, v24
	ds_read_b32 v25, v22 offset:2860
	s_and_saveexec_b32 s1, s0
	s_cbranch_execz .LBB0_16
; %bb.15:
	v_add_nc_u32_e32 v2, 0x400, v22
	v_add_nc_u32_e32 v3, 0xa00, v22
	ds_read2_b32 v[6:7], v22 offset0:78 offset1:221
	ds_read2_b32 v[8:9], v2 offset0:108 offset1:251
	;; [unrolled: 1-line block ×3, first 2 shown]
.LBB0_16:
	s_or_b32 exec_lo, exec_lo, s1
	v_add_f32_e32 v4, v31, v38
	v_sub_f32_e32 v18, v41, v42
	v_add_f32_e32 v38, v38, v34
	v_sub_f32_e32 v37, v37, v39
	v_add_f32_e32 v41, v36, v35
	v_add_f32_e32 v4, v4, v36
	v_mul_f32_e32 v39, 0xbf68dda4, v18
	v_mul_f32_e32 v42, 0xbf7d64f0, v18
	;; [unrolled: 1-line block ×4, first 2 shown]
	v_add_f32_e32 v4, v4, v29
	v_fmamk_f32 v48, v38, 0x3ed4b147, v39
	v_fma_f32 v39, 0x3ed4b147, v38, -v39
	v_mul_f32_e32 v43, 0xbf4178ce, v18
	v_mul_f32_e32 v18, 0xbe903f40, v18
	v_add_f32_e32 v4, v4, v26
	v_mul_f32_e32 v46, 0x3e903f40, v37
	v_fmamk_f32 v49, v38, 0xbe11bafb, v42
	v_fma_f32 v42, 0xbe11bafb, v38, -v42
	v_add_f32_e32 v39, v31, v39
	v_add_f32_e32 v4, v4, v12
	v_mul_f32_e32 v44, 0xbf68dda4, v37
	v_fmamk_f32 v47, v38, 0x3f575c64, v36
	v_fmamk_f32 v50, v38, 0xbf27a4f4, v43
	v_fma_f32 v43, 0xbf27a4f4, v38, -v43
	v_add_f32_e32 v4, v4, v21
	v_fmamk_f32 v51, v38, 0xbf75a155, v18
	v_fmamk_f32 v52, v41, 0xbf27a4f4, v45
	v_add_f32_e32 v42, v31, v42
	v_sub_f32_e32 v32, v32, v33
	v_add_f32_e32 v4, v4, v27
	v_fma_f32 v36, 0x3f575c64, v38, -v36
	v_fma_f32 v18, 0xbf75a155, v38, -v18
	v_fmamk_f32 v38, v41, 0x3ed4b147, v44
	v_add_f32_e32 v47, v31, v47
	v_add_f32_e32 v4, v4, v30
	;; [unrolled: 1-line block ×3, first 2 shown]
	v_mul_f32_e32 v30, 0xbf7d64f0, v32
	v_fma_f32 v44, 0x3ed4b147, v41, -v44
	v_add_f32_e32 v36, v31, v36
	v_add_f32_e32 v4, v4, v35
	;; [unrolled: 1-line block ×7, first 2 shown]
	v_fma_f32 v4, 0xbf27a4f4, v41, -v45
	v_fma_f32 v45, 0xbf75a155, v41, -v46
	v_add_f32_e32 v50, v31, v50
	v_add_f32_e32 v18, v31, v18
	;; [unrolled: 1-line block ×4, first 2 shown]
	v_mul_f32_e32 v39, 0x3f7d64f0, v37
	v_mul_f32_e32 v37, 0x3f0a6770, v37
	v_add_f32_e32 v42, v45, v42
	v_fmamk_f32 v38, v41, 0xbf75a155, v46
	v_add_f32_e32 v36, v44, v36
	v_fmamk_f32 v33, v41, 0xbe11bafb, v39
	v_fma_f32 v39, 0xbe11bafb, v41, -v39
	v_fmamk_f32 v45, v41, 0x3f575c64, v37
	v_fma_f32 v37, 0x3f575c64, v41, -v37
	;; [unrolled: 2-line block ×3, first 2 shown]
	v_add_f32_e32 v35, v39, v35
	v_add_f32_e32 v39, v45, v43
	v_mul_f32_e32 v43, 0x3e903f40, v32
	v_add_f32_e32 v18, v37, v18
	v_mul_f32_e32 v37, 0x3f68dda4, v32
	v_add_f32_e32 v31, v41, v31
	v_add_f32_e32 v38, v38, v49
	v_fmamk_f32 v41, v29, 0xbf75a155, v43
	v_fma_f32 v43, 0xbf75a155, v29, -v43
	v_add_f32_e32 v30, v30, v36
	v_fmamk_f32 v36, v29, 0x3ed4b147, v37
	v_sub_f32_e32 v13, v13, v28
	v_add_f32_e32 v33, v33, v50
	v_add_f32_e32 v4, v43, v4
	v_mul_f32_e32 v43, 0xbf0a6770, v32
	v_fma_f32 v37, 0x3ed4b147, v29, -v37
	v_add_f32_e32 v36, v36, v38
	v_mul_f32_e32 v28, 0xbf4178ce, v32
	v_add_f32_e32 v26, v26, v27
	v_fmamk_f32 v32, v29, 0x3f575c64, v43
	v_fma_f32 v38, 0x3f575c64, v29, -v43
	v_mul_f32_e32 v27, 0xbf4178ce, v13
	v_add_f32_e32 v37, v37, v42
	v_fmamk_f32 v42, v29, 0xbf27a4f4, v28
	v_add_f32_e32 v32, v32, v33
	v_add_f32_e32 v33, v38, v35
	v_fma_f32 v28, 0xbf27a4f4, v29, -v28
	v_fmamk_f32 v29, v26, 0xbf27a4f4, v27
	v_mul_f32_e32 v38, 0x3f7d64f0, v13
	v_fma_f32 v27, 0xbf27a4f4, v26, -v27
	v_add_f32_e32 v44, v52, v48
	v_add_f32_e32 v18, v28, v18
	;; [unrolled: 1-line block ×3, first 2 shown]
	v_fmamk_f32 v31, v26, 0xbe11bafb, v38
	v_add_f32_e32 v27, v27, v30
	v_fma_f32 v30, 0xbe11bafb, v26, -v38
	v_mul_f32_e32 v38, 0xbe903f40, v13
	v_mul_f32_e32 v29, 0xbf0a6770, v13
	;; [unrolled: 1-line block ×3, first 2 shown]
	v_sub_f32_e32 v10, v10, v11
	v_add_f32_e32 v30, v30, v4
	v_fmamk_f32 v4, v26, 0xbf75a155, v38
	v_add_f32_e32 v41, v41, v44
	v_add_f32_e32 v35, v42, v39
	v_fmamk_f32 v39, v26, 0x3f575c64, v29
	v_fma_f32 v29, 0x3f575c64, v26, -v29
	v_add_f32_e32 v11, v4, v32
	v_fma_f32 v4, 0xbf75a155, v26, -v38
	v_fmamk_f32 v32, v26, 0x3ed4b147, v13
	v_add_f32_e32 v12, v12, v21
	v_mul_f32_e32 v21, 0xbe903f40, v10
	v_fma_f32 v13, 0x3ed4b147, v26, -v13
	v_add_f32_e32 v26, v4, v33
	v_mul_f32_e32 v4, 0x3f0a6770, v10
	v_add_f32_e32 v31, v31, v41
	v_add_f32_e32 v32, v32, v35
	v_fmamk_f32 v33, v12, 0xbf75a155, v21
	v_add_f32_e32 v18, v13, v18
	v_fmamk_f32 v35, v12, 0x3f575c64, v4
	v_fma_f32 v13, 0xbf75a155, v12, -v21
	v_mul_f32_e32 v21, 0xbf4178ce, v10
	v_add_f32_e32 v28, v33, v28
	v_fma_f32 v33, 0x3f575c64, v12, -v4
	v_add_f32_e32 v31, v35, v31
	v_mul_f32_e32 v35, 0x3f68dda4, v10
	v_mul_f32_e32 v10, 0xbf7d64f0, v10
	v_add_f32_e32 v4, v13, v27
	v_add_f32_e32 v13, v33, v30
	;; [unrolled: 1-line block ×3, first 2 shown]
	v_fmamk_f32 v30, v12, 0x3ed4b147, v35
	v_fma_f32 v33, 0x3ed4b147, v12, -v35
	v_fmamk_f32 v35, v12, 0xbe11bafb, v10
	v_fma_f32 v10, 0xbe11bafb, v12, -v10
	v_fmamk_f32 v27, v12, 0xbf27a4f4, v21
	v_add_f32_e32 v29, v29, v37
	v_fma_f32 v21, 0xbf27a4f4, v12, -v21
	s_waitcnt lgkmcnt(0)
	v_add_f32_e32 v10, v10, v18
	v_add_nc_u32_e32 v18, 0x200, v22
	v_add_f32_e32 v27, v27, v36
	v_add_f32_e32 v12, v21, v29
	v_add_f32_e32 v21, v30, v11
	v_add_f32_e32 v11, v33, v26
	v_add_f32_e32 v26, v35, v32
	s_barrier
	buffer_gl0_inv
	ds_write2_b32 v19, v34, v28 offset1:13
	ds_write2_b32 v19, v31, v27 offset0:26 offset1:39
	ds_write2_b32 v19, v21, v26 offset0:52 offset1:65
	;; [unrolled: 1-line block ×4, first 2 shown]
	ds_write_b32 v19, v4 offset:520
	s_waitcnt lgkmcnt(0)
	s_barrier
	buffer_gl0_inv
	ds_read2_b32 v[18:19], v18 offset0:15 offset1:158
	ds_read2_b32 v[20:21], v20 offset0:45 offset1:188
	ds_read_b32 v24, v24
	ds_read_b32 v26, v22 offset:2860
	s_and_saveexec_b32 s1, s0
	s_cbranch_execz .LBB0_18
; %bb.17:
	v_add_nc_u32_e32 v4, 0x400, v22
	v_add_nc_u32_e32 v5, 0xa00, v22
	ds_read2_b32 v[10:11], v22 offset0:78 offset1:221
	ds_read2_b32 v[12:13], v4 offset0:108 offset1:251
	;; [unrolled: 1-line block ×3, first 2 shown]
.LBB0_18:
	s_or_b32 exec_lo, exec_lo, s1
	s_and_saveexec_b32 s1, vcc_lo
	s_cbranch_execz .LBB0_21
; %bb.19:
	v_mul_u32_u24_e32 v22, 5, v40
	v_mad_u64_u32 v[37:38], null, s2, v40, 0
	v_add_nc_u32_e32 v51, 0x8f, v40
	v_add_nc_u32_e32 v52, 0x11e, v40
	v_lshlrev_b32_e32 v22, 3, v22
	v_add_nc_u32_e32 v53, 0x1ad, v40
	v_add_nc_u32_e32 v54, 0x23c, v40
	v_add_nc_u32_e32 v55, 0x2cb, v40
	v_mad_u64_u32 v[41:42], null, s2, v51, 0
	s_clause 0x2
	global_load_dwordx4 v[27:30], v22, s[8:9] offset:1040
	global_load_dwordx4 v[31:34], v22, s[8:9] offset:1056
	global_load_dwordx2 v[35:36], v22, s[8:9] offset:1072
	v_mad_u64_u32 v[43:44], null, s2, v52, 0
	v_mad_u64_u32 v[45:46], null, s2, v53, 0
	;; [unrolled: 1-line block ×3, first 2 shown]
	v_mov_b32_e32 v22, v38
	v_mad_u64_u32 v[49:50], null, s2, v55, 0
	v_add_co_u32 v0, vcc_lo, s12, v0
	v_mad_u64_u32 v[38:39], null, s3, v40, v[22:23]
	v_mov_b32_e32 v22, v42
	v_mov_b32_e32 v39, v44
	;; [unrolled: 1-line block ×5, first 2 shown]
	v_mad_u64_u32 v[50:51], null, s3, v51, v[22:23]
	v_mad_u64_u32 v[51:52], null, s3, v52, v[39:40]
	;; [unrolled: 1-line block ×5, first 2 shown]
	v_mov_b32_e32 v44, v51
	v_mov_b32_e32 v42, v50
	;; [unrolled: 1-line block ×3, first 2 shown]
	v_lshlrev_b64 v[37:38], 3, v[37:38]
	v_mov_b32_e32 v48, v53
	v_add_co_ci_u32_e32 v1, vcc_lo, s13, v1, vcc_lo
	v_lshlrev_b64 v[41:42], 3, v[41:42]
	v_lshlrev_b64 v[43:44], 3, v[43:44]
	v_add_co_u32 v37, vcc_lo, v0, v37
	v_add_co_ci_u32_e32 v38, vcc_lo, v1, v38, vcc_lo
	v_lshlrev_b64 v[45:46], 3, v[45:46]
	v_add_co_u32 v41, vcc_lo, v0, v41
	v_mov_b32_e32 v50, v54
	v_add_co_ci_u32_e32 v42, vcc_lo, v1, v42, vcc_lo
	v_lshlrev_b64 v[47:48], 3, v[47:48]
	v_add_co_u32 v43, vcc_lo, v0, v43
	v_add_co_ci_u32_e32 v44, vcc_lo, v1, v44, vcc_lo
	v_lshlrev_b64 v[49:50], 3, v[49:50]
	v_add_co_u32 v45, vcc_lo, v0, v45
	v_add_co_ci_u32_e32 v46, vcc_lo, v1, v46, vcc_lo
	v_add_co_u32 v47, vcc_lo, v0, v47
	v_add_co_ci_u32_e32 v48, vcc_lo, v1, v48, vcc_lo
	;; [unrolled: 2-line block ×3, first 2 shown]
	s_waitcnt vmcnt(2) lgkmcnt(3)
	v_mul_f32_e32 v22, v19, v30
	s_waitcnt vmcnt(1) lgkmcnt(2)
	v_mul_f32_e32 v39, v21, v34
	v_mul_f32_e32 v30, v15, v30
	;; [unrolled: 1-line block ×4, first 2 shown]
	s_waitcnt vmcnt(0) lgkmcnt(0)
	v_mul_f32_e32 v53, v26, v36
	v_mul_f32_e32 v32, v16, v32
	;; [unrolled: 1-line block ×5, first 2 shown]
	v_fmac_f32_e32 v30, v19, v29
	v_fmac_f32_e32 v34, v21, v33
	v_fma_f32 v16, v16, v31, -v52
	v_fma_f32 v19, v25, v35, -v53
	v_fmac_f32_e32 v32, v20, v31
	v_fmac_f32_e32 v36, v26, v35
	v_fma_f32 v15, v15, v29, -v22
	v_fma_f32 v17, v17, v33, -v39
	;; [unrolled: 1-line block ×3, first 2 shown]
	v_fmac_f32_e32 v28, v18, v27
	v_add_f32_e32 v20, v30, v34
	v_add_f32_e32 v21, v16, v19
	;; [unrolled: 1-line block ×3, first 2 shown]
	v_sub_f32_e32 v22, v32, v36
	v_sub_f32_e32 v25, v16, v19
	v_add_f32_e32 v27, v24, v30
	v_add_f32_e32 v29, v28, v32
	;; [unrolled: 1-line block ×3, first 2 shown]
	v_fma_f32 v24, -0.5, v20, v24
	v_fma_f32 v20, -0.5, v21, v14
	;; [unrolled: 1-line block ×3, first 2 shown]
	v_sub_f32_e32 v18, v15, v17
	v_add_f32_e32 v15, v23, v15
	v_add_f32_e32 v26, v27, v34
	v_add_f32_e32 v27, v29, v36
	v_fma_f32 v28, -0.5, v31, v23
	v_fmamk_f32 v29, v22, 0xbf5db3d7, v20
	v_fmamk_f32 v31, v25, 0x3f5db3d7, v21
	v_fmac_f32_e32 v21, 0xbf5db3d7, v25
	v_fmac_f32_e32 v20, 0x3f5db3d7, v22
	v_add_f32_e32 v16, v14, v16
	v_sub_f32_e32 v30, v30, v34
	v_add_f32_e32 v23, v15, v17
	v_sub_f32_e32 v15, v26, v27
	v_add_f32_e32 v17, v26, v27
	v_mul_f32_e32 v22, 0xbf5db3d7, v20
	v_mul_f32_e32 v26, 0x3f5db3d7, v21
	v_add_f32_e32 v16, v16, v19
	v_fmamk_f32 v19, v18, 0x3f5db3d7, v24
	v_fmac_f32_e32 v24, 0xbf5db3d7, v18
	v_mul_f32_e32 v18, -0.5, v31
	v_mul_f32_e32 v27, -0.5, v29
	v_fmamk_f32 v25, v30, 0xbf5db3d7, v28
	v_fmac_f32_e32 v28, 0x3f5db3d7, v30
	v_fmac_f32_e32 v22, 0.5, v21
	v_fmac_f32_e32 v26, 0.5, v20
	v_sub_f32_e32 v14, v23, v16
	v_add_f32_e32 v16, v23, v16
	v_fmac_f32_e32 v18, 0xbf5db3d7, v29
	v_fmac_f32_e32 v27, 0x3f5db3d7, v31
	v_add_f32_e32 v21, v24, v22
	v_add_f32_e32 v20, v28, v26
	global_store_dwordx2 v[37:38], v[16:17], off
	v_sub_f32_e32 v17, v19, v18
	v_add_f32_e32 v19, v19, v18
	v_add_f32_e32 v18, v25, v27
	v_sub_f32_e32 v23, v24, v22
	v_sub_f32_e32 v22, v28, v26
	;; [unrolled: 1-line block ×3, first 2 shown]
	global_store_dwordx2 v[41:42], v[20:21], off
	global_store_dwordx2 v[43:44], v[18:19], off
	;; [unrolled: 1-line block ×5, first 2 shown]
	s_and_b32 exec_lo, exec_lo, s0
	s_cbranch_execz .LBB0_21
; %bb.20:
	v_add_nc_u32_e32 v36, 0x4e, v40
	v_add_nc_u32_e32 v14, 0xffffffbf, v40
	v_mov_b32_e32 v15, 0
	v_add_nc_u32_e32 v38, 0xdd, v40
	v_add_nc_u32_e32 v39, 0x16c, v40
	v_mad_u64_u32 v[24:25], null, s2, v36, 0
	v_cndmask_b32_e64 v14, v14, v36, s0
	v_mad_u64_u32 v[26:27], null, s2, v38, 0
	v_add_nc_u32_e32 v41, 0x1fb, v40
	v_mad_u64_u32 v[28:29], null, s2, v39, 0
	v_mul_i32_i24_e32 v14, 5, v14
	v_add_nc_u32_e32 v42, 0x28a, v40
	v_mad_u64_u32 v[30:31], null, s2, v41, 0
	v_add_nc_u32_e32 v43, 0x319, v40
	v_lshlrev_b64 v[14:15], 3, v[14:15]
	v_mad_u64_u32 v[36:37], null, s3, v36, v[25:26]
	v_mad_u64_u32 v[32:33], null, s2, v42, 0
	;; [unrolled: 1-line block ×3, first 2 shown]
	v_add_co_u32 v22, vcc_lo, s8, v14
	v_add_co_ci_u32_e32 v23, vcc_lo, s9, v15, vcc_lo
	s_clause 0x2
	global_load_dwordx4 v[14:17], v[22:23], off offset:1040
	global_load_dwordx4 v[18:21], v[22:23], off offset:1056
	global_load_dwordx2 v[22:23], v[22:23], off offset:1072
	v_mad_u64_u32 v[34:35], null, s2, v43, 0
	v_mad_u64_u32 v[38:39], null, s3, v39, v[29:30]
	v_mov_b32_e32 v25, v36
	v_mad_u64_u32 v[39:40], null, s3, v41, v[31:32]
	v_mov_b32_e32 v27, v37
	v_mad_u64_u32 v[40:41], null, s3, v42, v[33:34]
	v_lshlrev_b64 v[24:25], 3, v[24:25]
	v_mov_b32_e32 v29, v38
	v_mad_u64_u32 v[41:42], null, s3, v43, v[35:36]
	v_lshlrev_b64 v[26:27], 3, v[26:27]
	v_mov_b32_e32 v31, v39
	v_lshlrev_b64 v[28:29], 3, v[28:29]
	v_add_co_u32 v24, vcc_lo, v0, v24
	v_mov_b32_e32 v33, v40
	v_add_co_ci_u32_e32 v25, vcc_lo, v1, v25, vcc_lo
	v_lshlrev_b64 v[30:31], 3, v[30:31]
	v_add_co_u32 v26, vcc_lo, v0, v26
	v_mov_b32_e32 v35, v41
	v_add_co_ci_u32_e32 v27, vcc_lo, v1, v27, vcc_lo
	v_lshlrev_b64 v[32:33], 3, v[32:33]
	v_add_co_u32 v28, vcc_lo, v0, v28
	v_add_co_ci_u32_e32 v29, vcc_lo, v1, v29, vcc_lo
	v_lshlrev_b64 v[34:35], 3, v[34:35]
	v_add_co_u32 v30, vcc_lo, v0, v30
	v_add_co_ci_u32_e32 v31, vcc_lo, v1, v31, vcc_lo
	v_add_co_u32 v32, vcc_lo, v0, v32
	v_add_co_ci_u32_e32 v33, vcc_lo, v1, v33, vcc_lo
	;; [unrolled: 2-line block ×3, first 2 shown]
	s_waitcnt vmcnt(2)
	v_mul_f32_e32 v34, v11, v15
	v_mul_f32_e32 v15, v7, v15
	;; [unrolled: 1-line block ×4, first 2 shown]
	s_waitcnt vmcnt(1)
	v_mul_f32_e32 v36, v13, v19
	v_mul_f32_e32 v19, v9, v19
	;; [unrolled: 1-line block ×4, first 2 shown]
	s_waitcnt vmcnt(0)
	v_mul_f32_e32 v38, v5, v23
	v_mul_f32_e32 v23, v3, v23
	v_fmac_f32_e32 v15, v11, v14
	v_fma_f32 v8, v8, v16, -v35
	v_fmac_f32_e32 v17, v12, v16
	v_fma_f32 v9, v9, v18, -v36
	;; [unrolled: 2-line block ×5, first 2 shown]
	v_add_f32_e32 v5, v8, v2
	v_sub_f32_e32 v11, v17, v21
	v_add_f32_e32 v12, v10, v17
	v_add_f32_e32 v13, v17, v21
	;; [unrolled: 1-line block ×3, first 2 shown]
	v_sub_f32_e32 v17, v19, v23
	v_add_f32_e32 v18, v15, v19
	v_add_f32_e32 v19, v19, v23
	;; [unrolled: 1-line block ×3, first 2 shown]
	v_sub_f32_e32 v8, v8, v2
	v_add_f32_e32 v14, v7, v9
	v_sub_f32_e32 v9, v9, v3
	v_fmac_f32_e32 v6, -0.5, v5
	v_fmac_f32_e32 v10, -0.5, v13
	;; [unrolled: 1-line block ×4, first 2 shown]
	v_add_f32_e32 v5, v12, v21
	v_add_f32_e32 v12, v14, v3
	v_fmamk_f32 v14, v11, 0x3f5db3d7, v6
	v_fmac_f32_e32 v6, 0xbf5db3d7, v11
	v_fmamk_f32 v16, v8, 0xbf5db3d7, v10
	v_fmac_f32_e32 v10, 0x3f5db3d7, v8
	v_fmamk_f32 v8, v17, 0x3f5db3d7, v7
	v_fmamk_f32 v11, v9, 0xbf5db3d7, v15
	v_add_f32_e32 v4, v4, v2
	v_fmac_f32_e32 v7, 0xbf5db3d7, v17
	v_fmac_f32_e32 v15, 0x3f5db3d7, v9
	v_add_f32_e32 v13, v18, v23
	v_mul_f32_e32 v9, 0x3f5db3d7, v11
	v_mul_f32_e32 v17, 0xbf5db3d7, v8
	v_add_f32_e32 v2, v4, v12
	v_sub_f32_e32 v4, v4, v12
	v_mul_f32_e32 v12, -0.5, v7
	v_mul_f32_e32 v18, -0.5, v15
	v_add_f32_e32 v3, v5, v13
	v_fmac_f32_e32 v9, 0.5, v8
	v_fmac_f32_e32 v17, 0.5, v11
	v_fmac_f32_e32 v12, 0x3f5db3d7, v15
	v_fmac_f32_e32 v18, 0xbf5db3d7, v7
	global_store_dwordx2 v[24:25], v[2:3], off
	v_add_f32_e32 v2, v14, v9
	v_add_f32_e32 v3, v16, v17
	;; [unrolled: 1-line block ×4, first 2 shown]
	v_sub_f32_e32 v5, v5, v13
	v_sub_f32_e32 v11, v14, v9
	;; [unrolled: 1-line block ×5, first 2 shown]
	global_store_dwordx2 v[26:27], v[2:3], off
	global_store_dwordx2 v[28:29], v[7:8], off
	;; [unrolled: 1-line block ×5, first 2 shown]
.LBB0_21:
	s_endpgm
	.section	.rodata,"a",@progbits
	.p2align	6, 0x0
	.amdhsa_kernel fft_rtc_fwd_len858_factors_13_11_6_wgs_234_tpt_78_halfLds_sp_ip_CI_sbrr_dirReg
		.amdhsa_group_segment_fixed_size 0
		.amdhsa_private_segment_fixed_size 0
		.amdhsa_kernarg_size 88
		.amdhsa_user_sgpr_count 6
		.amdhsa_user_sgpr_private_segment_buffer 1
		.amdhsa_user_sgpr_dispatch_ptr 0
		.amdhsa_user_sgpr_queue_ptr 0
		.amdhsa_user_sgpr_kernarg_segment_ptr 1
		.amdhsa_user_sgpr_dispatch_id 0
		.amdhsa_user_sgpr_flat_scratch_init 0
		.amdhsa_user_sgpr_private_segment_size 0
		.amdhsa_wavefront_size32 1
		.amdhsa_uses_dynamic_stack 0
		.amdhsa_system_sgpr_private_segment_wavefront_offset 0
		.amdhsa_system_sgpr_workgroup_id_x 1
		.amdhsa_system_sgpr_workgroup_id_y 0
		.amdhsa_system_sgpr_workgroup_id_z 0
		.amdhsa_system_sgpr_workgroup_info 0
		.amdhsa_system_vgpr_workitem_id 0
		.amdhsa_next_free_vgpr 84
		.amdhsa_next_free_sgpr 23
		.amdhsa_reserve_vcc 1
		.amdhsa_reserve_flat_scratch 0
		.amdhsa_float_round_mode_32 0
		.amdhsa_float_round_mode_16_64 0
		.amdhsa_float_denorm_mode_32 3
		.amdhsa_float_denorm_mode_16_64 3
		.amdhsa_dx10_clamp 1
		.amdhsa_ieee_mode 1
		.amdhsa_fp16_overflow 0
		.amdhsa_workgroup_processor_mode 1
		.amdhsa_memory_ordered 1
		.amdhsa_forward_progress 0
		.amdhsa_shared_vgpr_count 0
		.amdhsa_exception_fp_ieee_invalid_op 0
		.amdhsa_exception_fp_denorm_src 0
		.amdhsa_exception_fp_ieee_div_zero 0
		.amdhsa_exception_fp_ieee_overflow 0
		.amdhsa_exception_fp_ieee_underflow 0
		.amdhsa_exception_fp_ieee_inexact 0
		.amdhsa_exception_int_div_zero 0
	.end_amdhsa_kernel
	.text
.Lfunc_end0:
	.size	fft_rtc_fwd_len858_factors_13_11_6_wgs_234_tpt_78_halfLds_sp_ip_CI_sbrr_dirReg, .Lfunc_end0-fft_rtc_fwd_len858_factors_13_11_6_wgs_234_tpt_78_halfLds_sp_ip_CI_sbrr_dirReg
                                        ; -- End function
	.section	.AMDGPU.csdata,"",@progbits
; Kernel info:
; codeLenInByte = 9428
; NumSgprs: 25
; NumVgprs: 84
; ScratchSize: 0
; MemoryBound: 0
; FloatMode: 240
; IeeeMode: 1
; LDSByteSize: 0 bytes/workgroup (compile time only)
; SGPRBlocks: 3
; VGPRBlocks: 10
; NumSGPRsForWavesPerEU: 25
; NumVGPRsForWavesPerEU: 84
; Occupancy: 10
; WaveLimiterHint : 1
; COMPUTE_PGM_RSRC2:SCRATCH_EN: 0
; COMPUTE_PGM_RSRC2:USER_SGPR: 6
; COMPUTE_PGM_RSRC2:TRAP_HANDLER: 0
; COMPUTE_PGM_RSRC2:TGID_X_EN: 1
; COMPUTE_PGM_RSRC2:TGID_Y_EN: 0
; COMPUTE_PGM_RSRC2:TGID_Z_EN: 0
; COMPUTE_PGM_RSRC2:TIDIG_COMP_CNT: 0
	.text
	.p2alignl 6, 3214868480
	.fill 48, 4, 3214868480
	.type	__hip_cuid_f8f4f45f8d034219,@object ; @__hip_cuid_f8f4f45f8d034219
	.section	.bss,"aw",@nobits
	.globl	__hip_cuid_f8f4f45f8d034219
__hip_cuid_f8f4f45f8d034219:
	.byte	0                               ; 0x0
	.size	__hip_cuid_f8f4f45f8d034219, 1

	.ident	"AMD clang version 19.0.0git (https://github.com/RadeonOpenCompute/llvm-project roc-6.4.0 25133 c7fe45cf4b819c5991fe208aaa96edf142730f1d)"
	.section	".note.GNU-stack","",@progbits
	.addrsig
	.addrsig_sym __hip_cuid_f8f4f45f8d034219
	.amdgpu_metadata
---
amdhsa.kernels:
  - .args:
      - .actual_access:  read_only
        .address_space:  global
        .offset:         0
        .size:           8
        .value_kind:     global_buffer
      - .offset:         8
        .size:           8
        .value_kind:     by_value
      - .actual_access:  read_only
        .address_space:  global
        .offset:         16
        .size:           8
        .value_kind:     global_buffer
      - .actual_access:  read_only
        .address_space:  global
        .offset:         24
        .size:           8
        .value_kind:     global_buffer
      - .offset:         32
        .size:           8
        .value_kind:     by_value
      - .actual_access:  read_only
        .address_space:  global
        .offset:         40
        .size:           8
        .value_kind:     global_buffer
      - .actual_access:  read_only
        .address_space:  global
        .offset:         48
        .size:           8
        .value_kind:     global_buffer
      - .offset:         56
        .size:           4
        .value_kind:     by_value
      - .actual_access:  read_only
        .address_space:  global
        .offset:         64
        .size:           8
        .value_kind:     global_buffer
      - .actual_access:  read_only
        .address_space:  global
        .offset:         72
        .size:           8
        .value_kind:     global_buffer
      - .address_space:  global
        .offset:         80
        .size:           8
        .value_kind:     global_buffer
    .group_segment_fixed_size: 0
    .kernarg_segment_align: 8
    .kernarg_segment_size: 88
    .language:       OpenCL C
    .language_version:
      - 2
      - 0
    .max_flat_workgroup_size: 234
    .name:           fft_rtc_fwd_len858_factors_13_11_6_wgs_234_tpt_78_halfLds_sp_ip_CI_sbrr_dirReg
    .private_segment_fixed_size: 0
    .sgpr_count:     25
    .sgpr_spill_count: 0
    .symbol:         fft_rtc_fwd_len858_factors_13_11_6_wgs_234_tpt_78_halfLds_sp_ip_CI_sbrr_dirReg.kd
    .uniform_work_group_size: 1
    .uses_dynamic_stack: false
    .vgpr_count:     84
    .vgpr_spill_count: 0
    .wavefront_size: 32
    .workgroup_processor_mode: 1
amdhsa.target:   amdgcn-amd-amdhsa--gfx1030
amdhsa.version:
  - 1
  - 2
...

	.end_amdgpu_metadata
